;; amdgpu-corpus repo=ROCm/rocm-examples kind=compiled arch=gfx1201 opt=O3
	.amdgcn_target "amdgcn-amd-amdhsa--gfx1201"
	.amdhsa_code_object_version 6
	.text
	.protected	_Z15hgemm_rocwmma_djjjPKDF16_S0_S0_PDF16_jjjjff ; -- Begin function _Z15hgemm_rocwmma_djjjPKDF16_S0_S0_PDF16_jjjjff
	.globl	_Z15hgemm_rocwmma_djjjPKDF16_S0_S0_PDF16_jjjjff
	.p2align	8
	.type	_Z15hgemm_rocwmma_djjjPKDF16_S0_S0_PDF16_jjjjff,@function
_Z15hgemm_rocwmma_djjjPKDF16_S0_S0_PDF16_jjjjff: ; @_Z15hgemm_rocwmma_djjjPKDF16_S0_S0_PDF16_jjjjff
; %bb.0:
	s_clause 0x1
	s_load_b32 s2, s[0:1], 0x54
	s_load_b96 s[16:18], s[0:1], 0x0
	v_and_b32_e32 v1, 0x3ff, v0
	v_bfe_u32 v0, v0, 10, 10
	s_wait_kmcnt 0x0
	s_and_b32 s3, s2, 0xffff
	s_lshr_b32 s2, s2, 16
	v_mad_co_u64_u32 v[2:3], null, ttmp9, s3, v[1:2]
	s_mul_i32 s2, ttmp7, s2
	s_wait_alu 0xfffe
	v_add_lshl_u32 v8, s2, v0, 4
	v_lshrrev_b32_e32 v2, 1, v2
	s_delay_alu instid0(VALU_DEP_2) | instskip(NEXT) | instid1(VALU_DEP_2)
	v_cmp_gt_u32_e64 s2, s17, v8
	v_and_b32_e32 v13, 0x7ffffff0, v2
	s_delay_alu instid0(VALU_DEP_1)
	v_cmp_gt_u32_e32 vcc_lo, s16, v13
	s_and_b32 s2, vcc_lo, s2
	s_wait_alu 0xfffe
	s_and_saveexec_b32 s3, s2
	s_cbranch_execz .LBB0_7
; %bb.1:
	s_clause 0x2
	s_load_b256 s[4:11], s[0:1], 0x10
	s_load_b128 s[12:15], s[0:1], 0x30
	s_load_b64 s[0:1], s[0:1], 0x40
	v_and_b32_e32 v14, 15, v1
	v_lshrrev_b32_e32 v15, 1, v1
	s_cmp_lg_u32 s18, 0
	s_mov_b32 s2, 0
	s_cbranch_scc0 .LBB0_8
; %bb.2:
	v_and_b32_e32 v9, 15, v1
	v_and_b32_e32 v10, 8, v15
	s_wait_kmcnt 0x0
	v_mul_lo_u32 v16, v13, s12
	v_mul_lo_u32 v17, v8, s13
	s_delay_alu instid0(VALU_DEP_3) | instskip(SKIP_1) | instid1(VALU_DEP_1)
	v_mad_co_u64_u32 v[11:12], null, s12, v9, v[10:11]
	v_mov_b32_e32 v12, 0
	v_mov_b32_e32 v1, v12
	s_delay_alu instid0(VALU_DEP_3) | instskip(SKIP_4) | instid1(VALU_DEP_4)
	v_mad_co_u64_u32 v[3:4], null, s13, v9, v[10:11]
	v_mov_b32_e32 v4, v12
	v_lshlrev_b64_e32 v[5:6], 1, v[11:12]
	v_mov_b32_e32 v0, v12
	v_dual_mov_b32 v2, v12 :: v_dual_mov_b32 v7, v12
	v_lshlrev_b64_e32 v[3:4], 1, v[3:4]
	s_delay_alu instid0(VALU_DEP_4) | instskip(NEXT) | instid1(VALU_DEP_1)
	v_add_co_u32 v18, vcc_lo, s4, v5
	v_add_co_ci_u32_e64 v19, null, s5, v6, vcc_lo
	v_mov_b32_e32 v5, v12
	s_delay_alu instid0(VALU_DEP_4)
	v_add_co_u32 v20, vcc_lo, s6, v3
	s_wait_alu 0xfffd
	v_add_co_ci_u32_e64 v21, null, s7, v4, vcc_lo
	v_dual_mov_b32 v3, v12 :: v_dual_mov_b32 v4, v12
	v_mov_b32_e32 v6, v12
.LBB0_3:                                ; =>This Inner Loop Header: Depth=1
	s_wait_alu 0xfffe
	v_add_nc_u32_e32 v11, s2, v16
	s_delay_alu instid0(VALU_DEP_1) | instskip(SKIP_4) | instid1(VALU_DEP_1)
	v_lshlrev_b64_e32 v[22:23], 1, v[11:12]
	v_add_nc_u32_e32 v11, s2, v17
	s_add_co_i32 s2, s2, 16
	s_wait_alu 0xfffe
	s_cmp_ge_u32 s2, s18
	v_lshlrev_b64_e32 v[24:25], 1, v[11:12]
	v_add_co_u32 v22, vcc_lo, v18, v22
	s_wait_alu 0xfffd
	v_add_co_ci_u32_e64 v23, null, v19, v23, vcc_lo
	s_delay_alu instid0(VALU_DEP_3)
	v_add_co_u32 v26, vcc_lo, v20, v24
	s_wait_alu 0xfffd
	v_add_co_ci_u32_e64 v27, null, v21, v25, vcc_lo
	global_load_b128 v[22:25], v[22:23], off
	global_load_b128 v[26:29], v[26:27], off
	s_wait_loadcnt 0x0
	v_wmma_f32_16x16x16_f16 v[0:7], v[22:25], v[26:29], v[0:7]
	s_cbranch_scc0 .LBB0_3
; %bb.4:
	s_branch .LBB0_6
.LBB0_5:
	v_dual_mov_b32 v0, 0 :: v_dual_mov_b32 v9, v14
	s_delay_alu instid0(VALU_DEP_1)
	v_dual_mov_b32 v1, v0 :: v_dual_and_b32 v10, 8, v15
	v_dual_mov_b32 v2, v0 :: v_dual_mov_b32 v3, v0
	v_dual_mov_b32 v4, v0 :: v_dual_mov_b32 v5, v0
	;; [unrolled: 1-line block ×3, first 2 shown]
.LBB0_6:
	s_wait_kmcnt 0x0
	v_mad_co_u64_u32 v[11:12], null, v13, s14, v[8:9]
	v_mad_co_u64_u32 v[14:15], null, s14, v10, v[9:10]
	v_mov_b32_e32 v12, 0
	s_delay_alu instid0(VALU_DEP_1) | instskip(NEXT) | instid1(VALU_DEP_3)
	v_lshlrev_b64_e32 v[16:17], 1, v[11:12]
	v_add_nc_u32_e32 v11, s14, v14
	v_mov_b32_e32 v15, v12
	s_delay_alu instid0(VALU_DEP_2) | instskip(SKIP_2) | instid1(VALU_DEP_4)
	v_lshlrev_b64_e32 v[18:19], 1, v[11:12]
	v_add_nc_u32_e32 v11, s14, v11
	v_add_co_u32 v24, vcc_lo, s8, v16
	v_lshlrev_b64_e32 v[14:15], 1, v[14:15]
	s_wait_alu 0xfffd
	v_add_co_ci_u32_e64 v25, null, s9, v17, vcc_lo
	v_lshlrev_b64_e32 v[16:17], 1, v[11:12]
	v_add_nc_u32_e32 v11, s14, v11
	s_delay_alu instid0(VALU_DEP_4) | instskip(SKIP_2) | instid1(VALU_DEP_3)
	v_add_co_u32 v14, vcc_lo, v24, v14
	s_wait_alu 0xfffd
	v_add_co_ci_u32_e64 v15, null, v25, v15, vcc_lo
	v_lshlrev_b64_e32 v[20:21], 1, v[11:12]
	v_add_co_u32 v18, vcc_lo, v24, v18
	v_add_nc_u32_e32 v11, s14, v11
	s_wait_alu 0xfffd
	v_add_co_ci_u32_e64 v19, null, v25, v19, vcc_lo
	v_add_co_u32 v16, vcc_lo, v24, v16
	s_wait_alu 0xfffd
	v_add_co_ci_u32_e64 v17, null, v25, v17, vcc_lo
	v_add_co_u32 v20, vcc_lo, v24, v20
	s_wait_alu 0xfffd
	v_add_co_ci_u32_e64 v21, null, v25, v21, vcc_lo
	v_lshlrev_b64_e32 v[22:23], 1, v[11:12]
	v_add_nc_u32_e32 v11, s14, v11
	s_clause 0x3
	global_load_u16 v26, v[14:15], off
	global_load_u16 v27, v[18:19], off
	;; [unrolled: 1-line block ×4, first 2 shown]
	v_lshlrev_b64_e32 v[14:15], 1, v[11:12]
	v_add_nc_u32_e32 v11, s14, v11
	v_add_co_u32 v16, vcc_lo, v24, v22
	s_wait_alu 0xfffd
	v_add_co_ci_u32_e64 v17, null, v25, v23, vcc_lo
	s_delay_alu instid0(VALU_DEP_3) | instskip(SKIP_4) | instid1(VALU_DEP_3)
	v_lshlrev_b64_e32 v[18:19], 1, v[11:12]
	v_add_nc_u32_e32 v11, s14, v11
	v_add_co_u32 v14, vcc_lo, v24, v14
	s_wait_alu 0xfffd
	v_add_co_ci_u32_e64 v15, null, v25, v15, vcc_lo
	v_lshlrev_b64_e32 v[20:21], 1, v[11:12]
	v_add_co_u32 v18, vcc_lo, v24, v18
	s_wait_alu 0xfffd
	v_add_co_ci_u32_e64 v19, null, v25, v19, vcc_lo
	s_delay_alu instid0(VALU_DEP_3)
	v_add_co_u32 v20, vcc_lo, v24, v20
	s_wait_alu 0xfffd
	v_add_co_ci_u32_e64 v21, null, v25, v21, vcc_lo
	s_clause 0x3
	global_load_u16 v25, v[16:17], off
	global_load_u16 v30, v[14:15], off
	;; [unrolled: 1-line block ×4, first 2 shown]
	v_mad_co_u64_u32 v[13:14], null, v13, s15, v[8:9]
	v_mad_co_u64_u32 v[8:9], null, s15, v10, v[9:10]
	v_mov_b32_e32 v14, v12
	s_delay_alu instid0(VALU_DEP_1) | instskip(NEXT) | instid1(VALU_DEP_3)
	v_lshlrev_b64_e32 v[13:14], 1, v[13:14]
	v_add_nc_u32_e32 v11, s15, v8
	s_delay_alu instid0(VALU_DEP_2) | instskip(SKIP_1) | instid1(VALU_DEP_3)
	v_add_co_u32 v33, vcc_lo, s10, v13
	s_wait_alu 0xfffd
	v_add_co_ci_u32_e64 v34, null, s11, v14, vcc_lo
	s_delay_alu instid0(VALU_DEP_3) | instskip(SKIP_1) | instid1(VALU_DEP_1)
	v_lshlrev_b64_e32 v[13:14], 1, v[11:12]
	v_add_nc_u32_e32 v11, s15, v11
	v_lshlrev_b64_e32 v[15:16], 1, v[11:12]
	v_add_nc_u32_e32 v11, s15, v11
	s_delay_alu instid0(VALU_DEP_1) | instskip(SKIP_1) | instid1(VALU_DEP_1)
	v_lshlrev_b64_e32 v[17:18], 1, v[11:12]
	v_add_nc_u32_e32 v11, s15, v11
	v_lshlrev_b64_e32 v[19:20], 1, v[11:12]
	v_add_nc_u32_e32 v11, s15, v11
	s_delay_alu instid0(VALU_DEP_1) | instskip(SKIP_1) | instid1(VALU_DEP_1)
	v_lshlrev_b64_e32 v[21:22], 1, v[11:12]
	v_add_nc_u32_e32 v11, s15, v11
	v_lshlrev_b64_e32 v[23:24], 1, v[11:12]
	v_add_nc_u32_e32 v11, s15, v11
	s_wait_loadcnt 0x7
	v_cvt_f32_f16_e32 v26, v26
	s_wait_loadcnt 0x6
	v_cvt_f32_f16_e32 v27, v27
	v_mov_b32_e32 v9, v12
	s_wait_loadcnt 0x5
	v_cvt_f32_f16_e32 v28, v28
	s_delay_alu instid0(VALU_DEP_2) | instskip(NEXT) | instid1(VALU_DEP_1)
	v_lshlrev_b64_e32 v[9:10], 1, v[8:9]
	v_add_co_u32 v8, vcc_lo, v33, v9
	s_wait_alu 0xfffd
	s_delay_alu instid0(VALU_DEP_2)
	v_add_co_ci_u32_e64 v9, null, v34, v10, vcc_lo
	v_lshlrev_b64_e32 v[10:11], 1, v[11:12]
	v_mul_f32_e32 v12, s1, v26
	v_mul_f32_e32 v26, s1, v27
	v_add_co_u32 v13, vcc_lo, v33, v13
	s_wait_alu 0xfffd
	v_add_co_ci_u32_e64 v14, null, v34, v14, vcc_lo
	v_fma_mixlo_f16 v0, s0, v0, v12
	v_fma_mixlo_f16 v1, s0, v1, v26
	v_mul_f32_e32 v27, s1, v28
	s_wait_loadcnt 0x4
	v_cvt_f32_f16_e32 v28, v29
	s_wait_loadcnt 0x3
	v_cvt_f32_f16_e32 v25, v25
	v_add_co_u32 v15, vcc_lo, v33, v15
	s_clause 0x1
	global_store_b16 v[8:9], v0, off
	global_store_b16 v[13:14], v1, off
	s_wait_loadcnt 0x2
	v_cvt_f32_f16_e32 v0, v30
	s_wait_loadcnt 0x1
	v_cvt_f32_f16_e32 v1, v31
	s_wait_alu 0xfffd
	v_add_co_ci_u32_e64 v16, null, v34, v16, vcc_lo
	v_add_co_u32 v17, vcc_lo, v33, v17
	s_wait_loadcnt 0x0
	v_cvt_f32_f16_e32 v8, v32
	v_mul_f32_e32 v12, s1, v28
	s_wait_alu 0xfffd
	v_add_co_ci_u32_e64 v18, null, v34, v18, vcc_lo
	v_add_co_u32 v19, vcc_lo, v33, v19
	v_fma_mixlo_f16 v2, s0, v2, v27
	v_dual_mul_f32 v9, s1, v25 :: v_dual_mul_f32 v0, s1, v0
	s_wait_alu 0xfffd
	v_add_co_ci_u32_e64 v20, null, v34, v20, vcc_lo
	v_add_co_u32 v21, vcc_lo, v33, v21
	v_dual_mul_f32 v1, s1, v1 :: v_dual_mul_f32 v8, s1, v8
	s_wait_alu 0xfffd
	v_add_co_ci_u32_e64 v22, null, v34, v22, vcc_lo
	v_add_co_u32 v23, vcc_lo, v33, v23
	v_fma_mixlo_f16 v3, s0, v3, v12
	global_store_b16 v[15:16], v2, off
	v_fma_mixlo_f16 v2, s0, v4, v9
	s_wait_alu 0xfffd
	v_add_co_ci_u32_e64 v24, null, v34, v24, vcc_lo
	v_fma_mixlo_f16 v4, s0, v5, v0
	v_add_co_u32 v0, vcc_lo, v33, v10
	v_fma_mixlo_f16 v5, s0, v6, v1
	v_fma_mixlo_f16 v6, s0, v7, v8
	s_wait_alu 0xfffd
	v_add_co_ci_u32_e64 v1, null, v34, v11, vcc_lo
	s_clause 0x4
	global_store_b16 v[17:18], v3, off
	global_store_b16 v[19:20], v2, off
	;; [unrolled: 1-line block ×5, first 2 shown]
.LBB0_7:
	s_endpgm
.LBB0_8:
                                        ; implicit-def: $vgpr7
                                        ; implicit-def: $vgpr9
                                        ; implicit-def: $vgpr10
	s_cbranch_execnz .LBB0_5
	s_branch .LBB0_6
	.section	.rodata,"a",@progbits
	.p2align	6, 0x0
	.amdhsa_kernel _Z15hgemm_rocwmma_djjjPKDF16_S0_S0_PDF16_jjjjff
		.amdhsa_group_segment_fixed_size 0
		.amdhsa_private_segment_fixed_size 0
		.amdhsa_kernarg_size 328
		.amdhsa_user_sgpr_count 2
		.amdhsa_user_sgpr_dispatch_ptr 0
		.amdhsa_user_sgpr_queue_ptr 0
		.amdhsa_user_sgpr_kernarg_segment_ptr 1
		.amdhsa_user_sgpr_dispatch_id 0
		.amdhsa_user_sgpr_private_segment_size 0
		.amdhsa_wavefront_size32 1
		.amdhsa_uses_dynamic_stack 0
		.amdhsa_enable_private_segment 0
		.amdhsa_system_sgpr_workgroup_id_x 1
		.amdhsa_system_sgpr_workgroup_id_y 1
		.amdhsa_system_sgpr_workgroup_id_z 0
		.amdhsa_system_sgpr_workgroup_info 0
		.amdhsa_system_vgpr_workitem_id 1
		.amdhsa_next_free_vgpr 35
		.amdhsa_next_free_sgpr 19
		.amdhsa_reserve_vcc 1
		.amdhsa_float_round_mode_32 0
		.amdhsa_float_round_mode_16_64 0
		.amdhsa_float_denorm_mode_32 3
		.amdhsa_float_denorm_mode_16_64 3
		.amdhsa_fp16_overflow 0
		.amdhsa_workgroup_processor_mode 1
		.amdhsa_memory_ordered 1
		.amdhsa_forward_progress 1
		.amdhsa_inst_pref_size 12
		.amdhsa_round_robin_scheduling 0
		.amdhsa_exception_fp_ieee_invalid_op 0
		.amdhsa_exception_fp_denorm_src 0
		.amdhsa_exception_fp_ieee_div_zero 0
		.amdhsa_exception_fp_ieee_overflow 0
		.amdhsa_exception_fp_ieee_underflow 0
		.amdhsa_exception_fp_ieee_inexact 0
		.amdhsa_exception_int_div_zero 0
	.end_amdhsa_kernel
	.text
.Lfunc_end0:
	.size	_Z15hgemm_rocwmma_djjjPKDF16_S0_S0_PDF16_jjjjff, .Lfunc_end0-_Z15hgemm_rocwmma_djjjPKDF16_S0_S0_PDF16_jjjjff
                                        ; -- End function
	.set _Z15hgemm_rocwmma_djjjPKDF16_S0_S0_PDF16_jjjjff.num_vgpr, 35
	.set _Z15hgemm_rocwmma_djjjPKDF16_S0_S0_PDF16_jjjjff.num_agpr, 0
	.set _Z15hgemm_rocwmma_djjjPKDF16_S0_S0_PDF16_jjjjff.numbered_sgpr, 19
	.set _Z15hgemm_rocwmma_djjjPKDF16_S0_S0_PDF16_jjjjff.num_named_barrier, 0
	.set _Z15hgemm_rocwmma_djjjPKDF16_S0_S0_PDF16_jjjjff.private_seg_size, 0
	.set _Z15hgemm_rocwmma_djjjPKDF16_S0_S0_PDF16_jjjjff.uses_vcc, 1
	.set _Z15hgemm_rocwmma_djjjPKDF16_S0_S0_PDF16_jjjjff.uses_flat_scratch, 0
	.set _Z15hgemm_rocwmma_djjjPKDF16_S0_S0_PDF16_jjjjff.has_dyn_sized_stack, 0
	.set _Z15hgemm_rocwmma_djjjPKDF16_S0_S0_PDF16_jjjjff.has_recursion, 0
	.set _Z15hgemm_rocwmma_djjjPKDF16_S0_S0_PDF16_jjjjff.has_indirect_call, 0
	.section	.AMDGPU.csdata,"",@progbits
; Kernel info:
; codeLenInByte = 1452
; TotalNumSgprs: 21
; NumVgprs: 35
; ScratchSize: 0
; MemoryBound: 0
; FloatMode: 240
; IeeeMode: 1
; LDSByteSize: 0 bytes/workgroup (compile time only)
; SGPRBlocks: 0
; VGPRBlocks: 4
; NumSGPRsForWavesPerEU: 21
; NumVGPRsForWavesPerEU: 35
; Occupancy: 16
; WaveLimiterHint : 0
; COMPUTE_PGM_RSRC2:SCRATCH_EN: 0
; COMPUTE_PGM_RSRC2:USER_SGPR: 2
; COMPUTE_PGM_RSRC2:TRAP_HANDLER: 0
; COMPUTE_PGM_RSRC2:TGID_X_EN: 1
; COMPUTE_PGM_RSRC2:TGID_Y_EN: 1
; COMPUTE_PGM_RSRC2:TGID_Z_EN: 0
; COMPUTE_PGM_RSRC2:TIDIG_COMP_CNT: 1
	.text
	.p2alignl 7, 3214868480
	.fill 96, 4, 3214868480
	.section	.AMDGPU.gpr_maximums,"",@progbits
	.set amdgpu.max_num_vgpr, 0
	.set amdgpu.max_num_agpr, 0
	.set amdgpu.max_num_sgpr, 0
	.text
	.type	__hip_cuid_123e71a1f2a08b26,@object ; @__hip_cuid_123e71a1f2a08b26
	.section	.bss,"aw",@nobits
	.globl	__hip_cuid_123e71a1f2a08b26
__hip_cuid_123e71a1f2a08b26:
	.byte	0                               ; 0x0
	.size	__hip_cuid_123e71a1f2a08b26, 1

	.ident	"AMD clang version 22.0.0git (https://github.com/RadeonOpenCompute/llvm-project roc-7.2.4 26084 f58b06dce1f9c15707c5f808fd002e18c2accf7e)"
	.section	".note.GNU-stack","",@progbits
	.addrsig
	.addrsig_sym __hip_cuid_123e71a1f2a08b26
	.amdgpu_metadata
---
amdhsa.kernels:
  - .args:
      - .offset:         0
        .size:           4
        .value_kind:     by_value
      - .offset:         4
        .size:           4
        .value_kind:     by_value
      - .offset:         8
        .size:           4
        .value_kind:     by_value
      - .address_space:  global
        .offset:         16
        .size:           8
        .value_kind:     global_buffer
      - .address_space:  global
        .offset:         24
        .size:           8
        .value_kind:     global_buffer
      - .address_space:  global
        .offset:         32
        .size:           8
        .value_kind:     global_buffer
      - .address_space:  global
        .offset:         40
        .size:           8
        .value_kind:     global_buffer
      - .offset:         48
        .size:           4
        .value_kind:     by_value
      - .offset:         52
        .size:           4
        .value_kind:     by_value
      - .offset:         56
        .size:           4
        .value_kind:     by_value
      - .offset:         60
        .size:           4
        .value_kind:     by_value
      - .offset:         64
        .size:           4
        .value_kind:     by_value
      - .offset:         68
        .size:           4
        .value_kind:     by_value
      - .offset:         72
        .size:           4
        .value_kind:     hidden_block_count_x
      - .offset:         76
        .size:           4
        .value_kind:     hidden_block_count_y
      - .offset:         80
        .size:           4
        .value_kind:     hidden_block_count_z
      - .offset:         84
        .size:           2
        .value_kind:     hidden_group_size_x
      - .offset:         86
        .size:           2
        .value_kind:     hidden_group_size_y
      - .offset:         88
        .size:           2
        .value_kind:     hidden_group_size_z
      - .offset:         90
        .size:           2
        .value_kind:     hidden_remainder_x
      - .offset:         92
        .size:           2
        .value_kind:     hidden_remainder_y
      - .offset:         94
        .size:           2
        .value_kind:     hidden_remainder_z
      - .offset:         112
        .size:           8
        .value_kind:     hidden_global_offset_x
      - .offset:         120
        .size:           8
        .value_kind:     hidden_global_offset_y
      - .offset:         128
        .size:           8
        .value_kind:     hidden_global_offset_z
      - .offset:         136
        .size:           2
        .value_kind:     hidden_grid_dims
    .group_segment_fixed_size: 0
    .kernarg_segment_align: 8
    .kernarg_segment_size: 328
    .language:       OpenCL C
    .language_version:
      - 2
      - 0
    .max_flat_workgroup_size: 1024
    .name:           _Z15hgemm_rocwmma_djjjPKDF16_S0_S0_PDF16_jjjjff
    .private_segment_fixed_size: 0
    .sgpr_count:     21
    .sgpr_spill_count: 0
    .symbol:         _Z15hgemm_rocwmma_djjjPKDF16_S0_S0_PDF16_jjjjff.kd
    .uniform_work_group_size: 1
    .uses_dynamic_stack: false
    .vgpr_count:     35
    .vgpr_spill_count: 0
    .wavefront_size: 32
    .workgroup_processor_mode: 1
amdhsa.target:   amdgcn-amd-amdhsa--gfx1201
amdhsa.version:
  - 1
  - 2
...

	.end_amdgpu_metadata
